;; amdgpu-corpus repo=ROCm/rocFFT kind=compiled arch=gfx906 opt=O3
	.text
	.amdgcn_target "amdgcn-amd-amdhsa--gfx906"
	.amdhsa_code_object_version 6
	.protected	bluestein_single_fwd_len14_dim1_dp_op_CI_CI ; -- Begin function bluestein_single_fwd_len14_dim1_dp_op_CI_CI
	.globl	bluestein_single_fwd_len14_dim1_dp_op_CI_CI
	.p2align	8
	.type	bluestein_single_fwd_len14_dim1_dp_op_CI_CI,@function
bluestein_single_fwd_len14_dim1_dp_op_CI_CI: ; @bluestein_single_fwd_len14_dim1_dp_op_CI_CI
; %bb.0:
	v_mul_u32_u24_e32 v1, 0x2493, v0
	s_load_dwordx4 s[0:3], s[4:5], 0x28
	v_lshrrev_b32_e32 v1, 16, v1
	v_mad_u64_u32 v[32:33], s[6:7], s6, 18, v[1:2]
	v_mov_b32_e32 v33, 0
	s_waitcnt lgkmcnt(0)
	v_cmp_gt_u64_e32 vcc, s[0:1], v[32:33]
	s_and_saveexec_b64 s[0:1], vcc
	s_cbranch_execz .LBB0_15
; %bb.1:
	s_mov_b32 s0, 0x38e38e39
	v_mul_hi_u32 v2, v32, s0
	s_load_dwordx2 s[12:13], s[4:5], 0x0
	s_load_dwordx2 s[6:7], s[4:5], 0x38
	v_mul_lo_u16_e32 v1, 7, v1
	v_sub_u16_e32 v36, v0, v1
	v_lshrrev_b32_e32 v2, 2, v2
	v_mul_lo_u32 v2, v2, 18
	v_cmp_gt_u16_e32 vcc, 2, v36
	v_lshlrev_b32_e32 v40, 4, v36
	v_or_b32_e32 v37, 2, v36
	v_sub_u32_e32 v0, v32, v2
	v_mul_u32_u24_e32 v41, 14, v0
	v_or_b32_e32 v0, v41, v36
	v_lshlrev_b32_e32 v42, 4, v0
	v_or_b32_e32 v38, 4, v36
	v_or_b32_e32 v39, 6, v36
	;; [unrolled: 1-line block ×5, first 2 shown]
	s_and_saveexec_b64 s[14:15], vcc
	s_cbranch_execz .LBB0_3
; %bb.2:
	s_load_dwordx2 s[0:1], s[4:5], 0x18
	v_mov_b32_e32 v8, s3
	s_waitcnt lgkmcnt(0)
	s_load_dwordx4 s[8:11], s[0:1], 0x0
	s_waitcnt lgkmcnt(0)
	v_mad_u64_u32 v[0:1], s[0:1], s10, v32, 0
	v_mad_u64_u32 v[2:3], s[0:1], s8, v36, 0
	;; [unrolled: 1-line block ×5, first 2 shown]
	v_mov_b32_e32 v1, v4
	v_lshlrev_b64 v[0:1], 4, v[0:1]
	v_mov_b32_e32 v3, v5
	v_add_co_u32_e64 v67, s[0:1], s2, v0
	v_mov_b32_e32 v0, v7
	v_addc_co_u32_e64 v68, s[0:1], v8, v1, s[0:1]
	v_mad_u64_u32 v[0:1], s[0:1], s9, v37, v[0:1]
	v_lshlrev_b64 v[2:3], 4, v[2:3]
	v_mov_b32_e32 v7, v0
	v_add_co_u32_e64 v16, s[0:1], v67, v2
	v_lshlrev_b64 v[0:1], 4, v[6:7]
	v_addc_co_u32_e64 v17, s[0:1], v68, v3, s[0:1]
	v_add_co_u32_e64 v18, s[0:1], v67, v0
	v_addc_co_u32_e64 v19, s[0:1], v68, v1, s[0:1]
	v_mad_u64_u32 v[20:21], s[0:1], s8, v38, 0
	v_mad_u64_u32 v[22:23], s[0:1], s8, v39, 0
	v_mov_b32_e32 v8, v21
	v_mad_u64_u32 v[24:25], s[0:1], s9, v38, v[8:9]
	v_mov_b32_e32 v8, v23
	v_mad_u64_u32 v[25:26], s[0:1], s9, v39, v[8:9]
	v_mov_b32_e32 v21, v24
	global_load_dwordx4 v[0:3], v40, s[12:13]
	global_load_dwordx4 v[4:7], v40, s[12:13] offset:32
	global_load_dwordx4 v[8:11], v[16:17], off
	global_load_dwordx4 v[12:15], v[18:19], off
	v_lshlrev_b64 v[16:17], 4, v[20:21]
	v_mov_b32_e32 v23, v25
	v_lshlrev_b64 v[18:19], 4, v[22:23]
	v_add_co_u32_e64 v24, s[0:1], v67, v16
	v_addc_co_u32_e64 v25, s[0:1], v68, v17, s[0:1]
	v_add_co_u32_e64 v26, s[0:1], v67, v18
	v_addc_co_u32_e64 v27, s[0:1], v68, v19, s[0:1]
	v_mad_u64_u32 v[43:44], s[0:1], s8, v35, 0
	global_load_dwordx4 v[16:19], v[24:25], off
	global_load_dwordx4 v[20:23], v[26:27], off
	v_mad_u64_u32 v[45:46], s[0:1], s8, v34, 0
	v_mov_b32_e32 v24, v44
	v_mad_u64_u32 v[47:48], s[0:1], s9, v35, v[24:25]
	v_mov_b32_e32 v24, v46
	v_mad_u64_u32 v[48:49], s[0:1], s9, v34, v[24:25]
	v_mov_b32_e32 v44, v47
	v_lshlrev_b64 v[43:44], 4, v[43:44]
	v_mov_b32_e32 v46, v48
	v_add_co_u32_e64 v59, s[0:1], v67, v43
	v_addc_co_u32_e64 v60, s[0:1], v68, v44, s[0:1]
	v_mad_u64_u32 v[61:62], s[0:1], s8, v33, 0
	v_lshlrev_b64 v[43:44], 4, v[45:46]
	global_load_dwordx4 v[24:27], v40, s[12:13] offset:64
	global_load_dwordx4 v[28:31], v40, s[12:13] offset:96
	v_add_co_u32_e64 v63, s[0:1], v67, v43
	v_mov_b32_e32 v43, v62
	v_addc_co_u32_e64 v64, s[0:1], v68, v44, s[0:1]
	v_mad_u64_u32 v[65:66], s[0:1], s9, v33, v[43:44]
	global_load_dwordx4 v[43:46], v[59:60], off
	global_load_dwordx4 v[47:50], v[63:64], off
	global_load_dwordx4 v[51:54], v40, s[12:13] offset:128
	global_load_dwordx4 v[55:58], v40, s[12:13] offset:160
	v_mov_b32_e32 v62, v65
	v_lshlrev_b64 v[59:60], 4, v[61:62]
	v_add_co_u32_e64 v67, s[0:1], v67, v59
	v_addc_co_u32_e64 v68, s[0:1], v68, v60, s[0:1]
	global_load_dwordx4 v[59:62], v[67:68], off
	global_load_dwordx4 v[63:66], v40, s[12:13] offset:192
	s_waitcnt vmcnt(11)
	v_mul_f64 v[67:68], v[10:11], v[2:3]
	v_mul_f64 v[2:3], v[8:9], v[2:3]
	s_waitcnt vmcnt(10)
	v_mul_f64 v[69:70], v[14:15], v[6:7]
	v_mul_f64 v[71:72], v[12:13], v[6:7]
	v_fma_f64 v[6:7], v[8:9], v[0:1], v[67:68]
	v_fma_f64 v[8:9], v[10:11], v[0:1], -v[2:3]
	v_fma_f64 v[0:1], v[12:13], v[4:5], v[69:70]
	v_fma_f64 v[2:3], v[14:15], v[4:5], -v[71:72]
	ds_write_b128 v42, v[6:9]
	s_waitcnt vmcnt(7)
	v_mul_f64 v[73:74], v[18:19], v[26:27]
	v_mul_f64 v[26:27], v[16:17], v[26:27]
	s_waitcnt vmcnt(6)
	v_mul_f64 v[4:5], v[22:23], v[30:31]
	v_fma_f64 v[10:11], v[16:17], v[24:25], v[73:74]
	v_mul_f64 v[16:17], v[20:21], v[30:31]
	v_fma_f64 v[12:13], v[18:19], v[24:25], -v[26:27]
	s_waitcnt vmcnt(3)
	v_mul_f64 v[18:19], v[45:46], v[53:54]
	v_mul_f64 v[24:25], v[43:44], v[53:54]
	s_waitcnt vmcnt(2)
	v_mul_f64 v[26:27], v[49:50], v[57:58]
	v_mul_f64 v[30:31], v[47:48], v[57:58]
	v_fma_f64 v[14:15], v[20:21], v[28:29], v[4:5]
	v_lshl_add_u32 v4, v41, 4, v40
	v_fma_f64 v[16:17], v[22:23], v[28:29], -v[16:17]
	s_waitcnt vmcnt(0)
	v_mul_f64 v[53:54], v[61:62], v[65:66]
	v_mul_f64 v[57:58], v[59:60], v[65:66]
	v_fma_f64 v[18:19], v[43:44], v[51:52], v[18:19]
	v_fma_f64 v[20:21], v[45:46], v[51:52], -v[24:25]
	v_fma_f64 v[22:23], v[47:48], v[55:56], v[26:27]
	v_fma_f64 v[24:25], v[49:50], v[55:56], -v[30:31]
	;; [unrolled: 2-line block ×3, first 2 shown]
	ds_write_b128 v4, v[0:3] offset:32
	ds_write_b128 v4, v[10:13] offset:64
	;; [unrolled: 1-line block ×6, first 2 shown]
.LBB0_3:
	s_or_b64 exec, exec, s[14:15]
	s_load_dwordx2 s[0:1], s[4:5], 0x20
	s_load_dwordx2 s[8:9], s[4:5], 0x8
	v_lshlrev_b32_e32 v43, 4, v41
	s_waitcnt lgkmcnt(0)
	s_barrier
	s_waitcnt lgkmcnt(0)
                                        ; implicit-def: $vgpr18_vgpr19
                                        ; implicit-def: $vgpr14_vgpr15
                                        ; implicit-def: $vgpr6_vgpr7
                                        ; implicit-def: $vgpr10_vgpr11
                                        ; implicit-def: $vgpr2_vgpr3
                                        ; implicit-def: $vgpr20_vgpr21
                                        ; implicit-def: $vgpr24_vgpr25
	s_and_saveexec_b64 s[2:3], vcc
	s_cbranch_execz .LBB0_5
; %bb.4:
	v_lshl_add_u32 v24, v36, 4, v43
	ds_read_b128 v[0:3], v42
	ds_read_b128 v[8:11], v24 offset:32
	ds_read_b128 v[4:7], v24 offset:64
	;; [unrolled: 1-line block ×6, first 2 shown]
.LBB0_5:
	s_or_b64 exec, exec, s[2:3]
	s_waitcnt lgkmcnt(0)
	v_add_f64 v[28:29], v[8:9], v[24:25]
	v_add_f64 v[30:31], v[10:11], v[26:27]
	v_add_f64 v[8:9], v[8:9], -v[24:25]
	v_add_f64 v[10:11], v[10:11], -v[26:27]
	v_add_f64 v[24:25], v[4:5], v[20:21]
	v_add_f64 v[26:27], v[6:7], v[22:23]
	v_add_f64 v[4:5], v[4:5], -v[20:21]
	v_add_f64 v[6:7], v[6:7], -v[22:23]
	;; [unrolled: 4-line block ×4, first 2 shown]
	v_add_f64 v[28:29], v[28:29], -v[20:21]
	v_add_f64 v[30:31], v[30:31], -v[22:23]
	;; [unrolled: 1-line block ×4, first 2 shown]
	v_add_f64 v[48:49], v[12:13], v[4:5]
	v_add_f64 v[50:51], v[14:15], v[6:7]
	v_add_f64 v[52:53], v[12:13], -v[4:5]
	v_add_f64 v[54:55], v[14:15], -v[6:7]
	v_add_f64 v[16:17], v[20:21], v[16:17]
	v_add_f64 v[18:19], v[22:23], v[18:19]
	v_add_f64 v[4:5], v[4:5], -v[8:9]
	v_add_f64 v[6:7], v[6:7], -v[10:11]
	s_mov_b32 s2, 0x37e14327
	s_mov_b32 s3, 0x3fe948f6
	v_mul_f64 v[20:21], v[28:29], s[2:3]
	v_mul_f64 v[22:23], v[30:31], s[2:3]
	s_mov_b32 s2, 0x36b3c0b5
	s_mov_b32 s3, 0x3fac98ee
	;; [unrolled: 1-line block ×3, first 2 shown]
	v_mul_f64 v[28:29], v[24:25], s[2:3]
	v_mul_f64 v[30:31], v[26:27], s[2:3]
	s_mov_b32 s5, 0xbfe11646
	v_add_f64 v[12:13], v[8:9], -v[12:13]
	v_add_f64 v[14:15], v[10:11], -v[14:15]
	v_add_f64 v[8:9], v[48:49], v[8:9]
	v_add_f64 v[10:11], v[50:51], v[10:11]
	v_mul_f64 v[48:49], v[52:53], s[4:5]
	v_mul_f64 v[50:51], v[54:55], s[4:5]
	s_mov_b32 s4, 0x429ad128
	s_mov_b32 s5, 0x3febfeb5
	v_add_f64 v[0:1], v[0:1], v[16:17]
	v_add_f64 v[2:3], v[2:3], v[18:19]
	v_mul_f64 v[52:53], v[4:5], s[4:5]
	v_mul_f64 v[54:55], v[6:7], s[4:5]
	v_fma_f64 v[24:25], v[24:25], s[2:3], v[20:21]
	v_fma_f64 v[26:27], v[26:27], s[2:3], v[22:23]
	s_mov_b32 s3, 0x3fe77f67
	s_mov_b32 s2, 0x5476071b
	v_fma_f64 v[28:29], v[44:45], s[2:3], -v[28:29]
	v_fma_f64 v[30:31], v[46:47], s[2:3], -v[30:31]
	s_mov_b32 s3, 0xbfe77f67
	s_mov_b32 s10, 0xaaaaaaaa
	v_fma_f64 v[20:21], v[44:45], s[2:3], -v[20:21]
	v_fma_f64 v[22:23], v[46:47], s[2:3], -v[22:23]
	s_mov_b32 s3, 0x3fd5d0dc
	s_mov_b32 s2, 0xb247c609
	;; [unrolled: 1-line block ×3, first 2 shown]
	v_fma_f64 v[44:45], v[12:13], s[2:3], v[48:49]
	v_fma_f64 v[46:47], v[14:15], s[2:3], v[50:51]
	s_mov_b32 s3, 0xbfd5d0dc
	v_fma_f64 v[16:17], v[16:17], s[10:11], v[0:1]
	v_fma_f64 v[18:19], v[18:19], s[10:11], v[2:3]
	v_fma_f64 v[4:5], v[4:5], s[4:5], -v[48:49]
	v_fma_f64 v[6:7], v[6:7], s[4:5], -v[50:51]
	;; [unrolled: 1-line block ×4, first 2 shown]
	s_mov_b32 s2, 0x37c3f68c
	s_mov_b32 s3, 0x3fdc38aa
	v_add_f64 v[48:49], v[28:29], v[16:17]
	v_add_f64 v[50:51], v[30:31], v[18:19]
	;; [unrolled: 1-line block ×4, first 2 shown]
	v_fma_f64 v[14:15], v[10:11], s[2:3], v[14:15]
	v_fma_f64 v[12:13], v[8:9], s[2:3], v[12:13]
	;; [unrolled: 1-line block ×4, first 2 shown]
	v_add_f64 v[24:25], v[24:25], v[16:17]
	v_add_f64 v[28:29], v[26:27], v[18:19]
	v_fma_f64 v[30:31], v[8:9], s[2:3], v[44:45]
	v_fma_f64 v[26:27], v[10:11], s[2:3], v[46:47]
	v_add_f64 v[4:5], v[20:21], v[14:15]
	v_add_f64 v[6:7], v[22:23], -v[12:13]
	v_add_f64 v[8:9], v[48:49], -v[52:53]
	v_add_f64 v[10:11], v[54:55], v[50:51]
	v_add_f64 v[16:17], v[48:49], v[52:53]
	v_add_f64 v[18:19], v[50:51], -v[54:55]
	v_add_f64 v[20:21], v[20:21], -v[14:15]
	v_add_f64 v[22:23], v[12:13], v[22:23]
	v_add_f64 v[12:13], v[24:25], -v[26:27]
	v_add_f64 v[14:15], v[30:31], v[28:29]
	v_mul_lo_u16_e32 v44, 7, v36
	s_barrier
	s_and_saveexec_b64 s[2:3], vcc
	s_cbranch_execz .LBB0_7
; %bb.6:
	v_add_f64 v[28:29], v[28:29], -v[30:31]
	v_add_f64 v[26:27], v[24:25], v[26:27]
	v_add_lshl_u32 v24, v41, v44, 4
	ds_write_b128 v24, v[0:3]
	ds_write_b128 v24, v[4:7] offset:32
	ds_write_b128 v24, v[8:11] offset:48
	;; [unrolled: 1-line block ×6, first 2 shown]
.LBB0_7:
	s_or_b64 exec, exec, s[2:3]
	s_load_dwordx4 s[0:3], s[0:1], 0x0
	s_waitcnt lgkmcnt(0)
	s_barrier
	global_load_dwordx4 v[0:3], v40, s[8:9]
	v_add_lshl_u32 v45, v41, v36, 4
	ds_read_b128 v[24:27], v45 offset:112
	v_lshl_add_u32 v46, v36, 4, v43
	s_waitcnt vmcnt(0) lgkmcnt(0)
	v_mul_f64 v[28:29], v[26:27], v[2:3]
	v_mul_f64 v[30:31], v[24:25], v[2:3]
	v_fma_f64 v[28:29], v[24:25], v[0:1], -v[28:29]
	v_fma_f64 v[30:31], v[26:27], v[0:1], v[30:31]
	ds_read_b128 v[24:27], v45
	s_waitcnt lgkmcnt(0)
	v_add_f64 v[28:29], v[24:25], -v[28:29]
	v_add_f64 v[30:31], v[26:27], -v[30:31]
	v_fma_f64 v[24:25], v[24:25], 2.0, -v[28:29]
	v_fma_f64 v[26:27], v[26:27], 2.0, -v[30:31]
	ds_write_b128 v46, v[28:31] offset:112
	ds_write_b128 v46, v[24:27]
	s_waitcnt lgkmcnt(0)
	s_barrier
	s_and_saveexec_b64 s[4:5], vcc
	s_cbranch_execz .LBB0_9
; %bb.8:
	global_load_dwordx4 v[51:54], v40, s[12:13] offset:224
	ds_read_b128 v[47:50], v42
	s_add_u32 s8, s12, 0xe0
	s_addc_u32 s9, s13, 0
	s_waitcnt vmcnt(0) lgkmcnt(0)
	v_mul_f64 v[55:56], v[49:50], v[53:54]
	v_fma_f64 v[55:56], v[47:48], v[51:52], -v[55:56]
	v_mul_f64 v[47:48], v[47:48], v[53:54]
	v_fma_f64 v[57:58], v[49:50], v[51:52], v[47:48]
	ds_write_b128 v42, v[55:58]
	ds_read_b128 v[47:50], v46 offset:32
	ds_read_b128 v[51:54], v46 offset:64
	global_load_dwordx4 v[55:58], v40, s[8:9] offset:32
	s_waitcnt vmcnt(0) lgkmcnt(1)
	v_mul_f64 v[59:60], v[49:50], v[57:58]
	v_fma_f64 v[59:60], v[47:48], v[55:56], -v[59:60]
	v_mul_f64 v[47:48], v[47:48], v[57:58]
	v_fma_f64 v[61:62], v[49:50], v[55:56], v[47:48]
	global_load_dwordx4 v[47:50], v40, s[8:9] offset:64
	ds_write_b128 v46, v[59:62] offset:32
	s_waitcnt vmcnt(0) lgkmcnt(1)
	v_mul_f64 v[55:56], v[53:54], v[49:50]
	v_mul_f64 v[49:50], v[51:52], v[49:50]
	v_fma_f64 v[55:56], v[51:52], v[47:48], -v[55:56]
	v_fma_f64 v[57:58], v[53:54], v[47:48], v[49:50]
	global_load_dwordx4 v[51:54], v40, s[8:9] offset:96
	ds_read_b128 v[47:50], v46 offset:96
	ds_write_b128 v46, v[55:58] offset:64
	s_waitcnt vmcnt(0) lgkmcnt(1)
	v_mul_f64 v[55:56], v[49:50], v[53:54]
	v_fma_f64 v[55:56], v[47:48], v[51:52], -v[55:56]
	v_mul_f64 v[47:48], v[47:48], v[53:54]
	v_fma_f64 v[57:58], v[49:50], v[51:52], v[47:48]
	global_load_dwordx4 v[51:54], v40, s[8:9] offset:128
	ds_read_b128 v[47:50], v46 offset:128
	ds_write_b128 v46, v[55:58] offset:96
	s_waitcnt vmcnt(0) lgkmcnt(1)
	v_mul_f64 v[55:56], v[49:50], v[53:54]
	v_fma_f64 v[55:56], v[47:48], v[51:52], -v[55:56]
	v_mul_f64 v[47:48], v[47:48], v[53:54]
	;; [unrolled: 8-line block ×4, first 2 shown]
	v_fma_f64 v[57:58], v[49:50], v[51:52], v[47:48]
	ds_write_b128 v46, v[55:58] offset:192
.LBB0_9:
	s_or_b64 exec, exec, s[4:5]
	s_waitcnt lgkmcnt(0)
	s_barrier
	s_and_saveexec_b64 s[4:5], vcc
	s_cbranch_execz .LBB0_11
; %bb.10:
	ds_read_b128 v[24:27], v42
	ds_read_b128 v[28:31], v46 offset:32
	ds_read_b128 v[4:7], v46 offset:64
	;; [unrolled: 1-line block ×6, first 2 shown]
.LBB0_11:
	s_or_b64 exec, exec, s[4:5]
	s_waitcnt lgkmcnt(0)
	s_barrier
	s_and_saveexec_b64 s[4:5], vcc
	s_cbranch_execz .LBB0_13
; %bb.12:
	v_add_f64 v[47:48], v[30:31], v[14:15]
	v_add_f64 v[49:50], v[6:7], v[22:23]
	v_add_f64 v[53:54], v[16:17], -v[8:9]
	v_add_f64 v[55:56], v[4:5], -v[20:21]
	v_add_f64 v[51:52], v[28:29], -v[12:13]
	v_add_f64 v[57:58], v[18:19], v[10:11]
	v_add_f64 v[12:13], v[28:29], v[12:13]
	;; [unrolled: 1-line block ×3, first 2 shown]
	s_mov_b32 s14, 0xe976ee23
	v_add_f64 v[59:60], v[49:50], v[47:48]
	s_mov_b32 s15, 0x3fe11646
	v_add_f64 v[4:5], v[53:54], -v[55:56]
	v_add_f64 v[8:9], v[16:17], v[8:9]
	v_add_f64 v[10:11], v[18:19], -v[10:11]
	v_add_f64 v[16:17], v[6:7], -v[22:23]
	;; [unrolled: 1-line block ×3, first 2 shown]
	v_add_f64 v[53:54], v[53:54], v[55:56]
	v_add_f64 v[28:29], v[57:58], v[59:60]
	v_add_f64 v[18:19], v[47:48], -v[57:58]
	v_mul_f64 v[59:60], v[4:5], s[14:15]
	v_add_f64 v[4:5], v[20:21], v[12:13]
	v_add_f64 v[63:64], v[12:13], -v[8:9]
	v_add_f64 v[65:66], v[10:11], -v[16:17]
	v_add_f64 v[14:15], v[30:31], -v[14:15]
	s_mov_b32 s16, 0x37e14327
	s_mov_b32 s17, 0x3fe948f6
	v_add_f64 v[53:54], v[53:54], v[51:52]
	v_add_f64 v[6:7], v[26:27], v[28:29]
	;; [unrolled: 1-line block ×3, first 2 shown]
	v_add_f64 v[26:27], v[57:58], -v[49:50]
	v_mul_f64 v[18:19], v[18:19], s[16:17]
	v_add_f64 v[47:48], v[49:50], -v[47:48]
	v_add_f64 v[49:50], v[16:17], -v[14:15]
	;; [unrolled: 1-line block ×3, first 2 shown]
	s_mov_b32 s18, 0x36b3c0b5
	s_mov_b32 s9, 0xbfd5d0dc
	v_add_f64 v[4:5], v[24:25], v[61:62]
	v_add_f64 v[24:25], v[55:56], -v[51:52]
	v_mul_f64 v[51:52], v[63:64], s[16:17]
	v_mul_f64 v[63:64], v[65:66], s[14:15]
	s_mov_b32 s14, 0x429ad128
	v_add_f64 v[55:56], v[14:15], -v[10:11]
	s_mov_b32 s15, 0xbfebfeb5
	s_mov_b32 s8, 0xb247c609
	;; [unrolled: 1-line block ×3, first 2 shown]
	v_mul_f64 v[67:68], v[24:25], s[14:15]
	v_add_f64 v[12:13], v[20:21], -v[12:13]
	v_fma_f64 v[57:58], v[22:23], s[8:9], v[59:60]
	v_fma_f64 v[30:31], v[26:27], s[18:19], v[18:19]
	v_mul_f64 v[26:27], v[26:27], s[18:19]
	v_fma_f64 v[20:21], v[55:56], s[8:9], v[63:64]
	v_add_f64 v[16:17], v[10:11], v[16:17]
	s_mov_b32 s9, 0x3fd5d0dc
	s_mov_b32 s17, 0xbfe77f67
	;; [unrolled: 1-line block ×3, first 2 shown]
	v_fma_f64 v[28:29], v[28:29], s[10:11], v[6:7]
	v_fma_f64 v[22:23], v[22:23], s[8:9], -v[67:68]
	v_fma_f64 v[18:19], v[47:48], s[16:17], -v[18:19]
	v_mul_f64 v[67:68], v[49:50], s[14:15]
	v_mul_f64 v[65:66], v[8:9], s[18:19]
	v_fma_f64 v[8:9], v[8:9], s[18:19], v[51:52]
	v_fma_f64 v[51:52], v[12:13], s[16:17], -v[51:52]
	s_mov_b32 s17, 0x3fe77f67
	s_mov_b32 s20, 0x37c3f68c
	v_fma_f64 v[26:27], v[47:48], s[16:17], -v[26:27]
	v_fma_f64 v[47:48], v[61:62], s[10:11], v[4:5]
	v_add_f64 v[14:15], v[16:17], v[14:15]
	s_mov_b32 s21, 0xbfdc38aa
	v_fma_f64 v[24:25], v[24:25], s[14:15], -v[59:60]
	v_add_f64 v[59:60], v[18:19], v[28:29]
	v_fma_f64 v[18:19], v[55:56], s[8:9], -v[67:68]
	v_fma_f64 v[16:17], v[53:54], s[20:21], v[22:23]
	v_fma_f64 v[12:13], v[12:13], s[16:17], -v[65:66]
	v_fma_f64 v[22:23], v[49:50], s[14:15], -v[63:64]
	v_fma_f64 v[57:58], v[53:54], s[20:21], v[57:58]
	v_add_f64 v[30:31], v[30:31], v[28:29]
	v_add_f64 v[8:9], v[8:9], v[47:48]
	v_fma_f64 v[49:50], v[14:15], s[20:21], v[20:21]
	v_add_f64 v[26:27], v[26:27], v[28:29]
	v_fma_f64 v[24:25], v[53:54], s[20:21], v[24:25]
	;; [unrolled: 2-line block ×4, first 2 shown]
	v_add_f64 v[10:11], v[57:58], v[30:31]
	v_add_f64 v[30:31], v[30:31], -v[57:58]
	v_add_f64 v[28:29], v[8:9], v[49:50]
	v_add_f64 v[18:19], v[26:27], -v[24:25]
	;; [unrolled: 2-line block ×4, first 2 shown]
	v_add_f64 v[14:15], v[16:17], v[59:60]
	v_add_f64 v[16:17], v[12:13], v[47:48]
	v_add_f64 v[12:13], v[51:52], -v[53:54]
	v_add_f64 v[8:9], v[8:9], -v[49:50]
	v_lshl_add_u32 v43, v44, 4, v43
	ds_write_b128 v43, v[4:7]
	ds_write_b128 v43, v[28:31] offset:16
	ds_write_b128 v43, v[24:27] offset:32
	;; [unrolled: 1-line block ×6, first 2 shown]
.LBB0_13:
	s_or_b64 exec, exec, s[4:5]
	s_waitcnt lgkmcnt(0)
	s_barrier
	ds_read_b128 v[4:7], v45 offset:112
	s_waitcnt lgkmcnt(0)
	v_mul_f64 v[8:9], v[2:3], v[6:7]
	v_mul_f64 v[2:3], v[2:3], v[4:5]
	v_fma_f64 v[4:5], v[0:1], v[4:5], v[8:9]
	v_fma_f64 v[6:7], v[0:1], v[6:7], -v[2:3]
	ds_read_b128 v[0:3], v45
	s_waitcnt lgkmcnt(0)
	v_add_f64 v[4:5], v[0:1], -v[4:5]
	v_add_f64 v[6:7], v[2:3], -v[6:7]
	v_fma_f64 v[0:1], v[0:1], 2.0, -v[4:5]
	v_fma_f64 v[2:3], v[2:3], 2.0, -v[6:7]
	ds_write_b128 v46, v[4:7] offset:112
	ds_write_b128 v46, v[0:3]
	s_waitcnt lgkmcnt(0)
	s_barrier
	s_and_b64 exec, exec, vcc
	s_cbranch_execz .LBB0_15
; %bb.14:
	global_load_dwordx4 v[0:3], v40, s[12:13]
	global_load_dwordx4 v[4:7], v40, s[12:13] offset:32
	global_load_dwordx4 v[8:11], v40, s[12:13] offset:64
	;; [unrolled: 1-line block ×4, first 2 shown]
	ds_read_b128 v[20:23], v42
	global_load_dwordx4 v[24:27], v40, s[12:13] offset:160
	global_load_dwordx4 v[28:31], v40, s[12:13] offset:192
	v_mad_u64_u32 v[56:57], s[4:5], s2, v32, 0
	v_mad_u64_u32 v[58:59], s[8:9], s0, v36, 0
	;; [unrolled: 1-line block ×9, first 2 shown]
	v_mov_b32_e32 v32, v65
	v_mad_u64_u32 v[38:39], s[2:3], s1, v39, v[32:33]
	v_mov_b32_e32 v57, v68
	v_mov_b32_e32 v61, v36
	;; [unrolled: 1-line block ×3, first 2 shown]
	v_lshlrev_b64 v[36:37], 4, v[56:57]
	v_mov_b32_e32 v59, v69
	v_mov_b32_e32 v71, s7
	;; [unrolled: 1-line block ×3, first 2 shown]
	v_lshlrev_b64 v[38:39], 4, v[58:59]
	v_add_co_u32_e32 v32, vcc, s6, v36
	v_addc_co_u32_e32 v70, vcc, v71, v37, vcc
	v_lshlrev_b64 v[56:57], 4, v[60:61]
	v_add_co_u32_e32 v36, vcc, v32, v38
	v_addc_co_u32_e32 v37, vcc, v70, v39, vcc
	v_lshlrev_b64 v[58:59], 4, v[62:63]
	v_add_co_u32_e32 v38, vcc, v32, v56
	v_lshl_add_u32 v72, v41, 4, v40
	v_addc_co_u32_e32 v39, vcc, v70, v57, vcc
	ds_read_b128 v[40:43], v72 offset:32
	ds_read_b128 v[44:47], v72 offset:64
	;; [unrolled: 1-line block ×4, first 2 shown]
	v_add_co_u32_e32 v56, vcc, v32, v58
	v_addc_co_u32_e32 v57, vcc, v70, v59, vcc
	v_lshlrev_b64 v[60:61], 4, v[64:65]
	s_mov_b32 s4, 0x92492492
	s_mov_b32 s5, 0x3fb24924
	v_mad_u64_u32 v[66:67], s[8:9], s0, v35, 0
	s_waitcnt vmcnt(6) lgkmcnt(4)
	v_mul_f64 v[58:59], v[22:23], v[2:3]
	v_mul_f64 v[2:3], v[20:21], v[2:3]
	s_waitcnt vmcnt(5) lgkmcnt(3)
	v_mul_f64 v[62:63], v[42:43], v[6:7]
	v_mul_f64 v[6:7], v[40:41], v[6:7]
	;; [unrolled: 3-line block ×4, first 2 shown]
	v_fma_f64 v[20:21], v[20:21], v[0:1], v[58:59]
	v_fma_f64 v[2:3], v[0:1], v[22:23], -v[2:3]
	v_fma_f64 v[40:41], v[40:41], v[4:5], v[62:63]
	v_fma_f64 v[6:7], v[4:5], v[42:43], -v[6:7]
	;; [unrolled: 2-line block ×4, first 2 shown]
	s_waitcnt vmcnt(2) lgkmcnt(0)
	v_mul_f64 v[22:23], v[54:55], v[18:19]
	v_mul_f64 v[18:19], v[52:53], v[18:19]
	;; [unrolled: 1-line block ×10, first 2 shown]
	v_fma_f64 v[22:23], v[52:53], v[16:17], v[22:23]
	v_fma_f64 v[16:17], v[16:17], v[54:55], -v[18:19]
	v_add_co_u32_e32 v20, vcc, v32, v60
	v_addc_co_u32_e32 v21, vcc, v70, v61, vcc
	global_store_dwordx4 v[36:37], v[0:3], off
	global_store_dwordx4 v[38:39], v[4:7], off
	;; [unrolled: 1-line block ×4, first 2 shown]
	v_mov_b32_e32 v0, v67
	ds_read_b128 v[4:7], v72 offset:160
	v_mad_u64_u32 v[8:9], s[2:3], s1, v35, v[0:1]
	v_mul_f64 v[2:3], v[16:17], s[4:5]
	v_mul_f64 v[0:1], v[22:23], s[4:5]
	v_mov_b32_e32 v67, v8
	ds_read_b128 v[8:11], v72 offset:192
	s_waitcnt vmcnt(5) lgkmcnt(1)
	v_mul_f64 v[14:15], v[6:7], v[26:27]
	v_mul_f64 v[16:17], v[4:5], v[26:27]
	v_mad_u64_u32 v[18:19], s[2:3], s0, v34, 0
	s_waitcnt vmcnt(4) lgkmcnt(0)
	v_mul_f64 v[20:21], v[8:9], v[30:31]
	v_lshlrev_b64 v[12:13], 4, v[66:67]
	v_add_co_u32_e32 v12, vcc, v32, v12
	v_fma_f64 v[4:5], v[4:5], v[24:25], v[14:15]
	v_fma_f64 v[6:7], v[24:25], v[6:7], -v[16:17]
	v_mul_f64 v[15:16], v[10:11], v[30:31]
	v_mov_b32_e32 v14, v19
	v_addc_co_u32_e32 v13, vcc, v70, v13, vcc
	global_store_dwordx4 v[12:13], v[0:3], off
	v_mad_u64_u32 v[22:23], s[2:3], s1, v34, v[14:15]
	v_mul_f64 v[2:3], v[6:7], s[4:5]
	v_fma_f64 v[6:7], v[8:9], v[28:29], v[15:16]
	v_fma_f64 v[8:9], v[28:29], v[10:11], -v[20:21]
	v_mad_u64_u32 v[10:11], s[2:3], s0, v33, 0
	v_mov_b32_e32 v19, v22
	v_mul_f64 v[0:1], v[4:5], s[4:5]
	v_lshlrev_b64 v[4:5], 4, v[18:19]
	v_add_co_u32_e32 v12, vcc, v32, v4
	v_mov_b32_e32 v4, v11
	v_mad_u64_u32 v[14:15], s[0:1], s1, v33, v[4:5]
	v_addc_co_u32_e32 v13, vcc, v70, v5, vcc
	v_mul_f64 v[4:5], v[6:7], s[4:5]
	v_mul_f64 v[6:7], v[8:9], s[4:5]
	v_mov_b32_e32 v11, v14
	global_store_dwordx4 v[12:13], v[0:3], off
	s_nop 0
	v_lshlrev_b64 v[0:1], 4, v[10:11]
	v_add_co_u32_e32 v0, vcc, v32, v0
	v_addc_co_u32_e32 v1, vcc, v70, v1, vcc
	global_store_dwordx4 v[0:1], v[4:7], off
.LBB0_15:
	s_endpgm
	.section	.rodata,"a",@progbits
	.p2align	6, 0x0
	.amdhsa_kernel bluestein_single_fwd_len14_dim1_dp_op_CI_CI
		.amdhsa_group_segment_fixed_size 4032
		.amdhsa_private_segment_fixed_size 0
		.amdhsa_kernarg_size 104
		.amdhsa_user_sgpr_count 6
		.amdhsa_user_sgpr_private_segment_buffer 1
		.amdhsa_user_sgpr_dispatch_ptr 0
		.amdhsa_user_sgpr_queue_ptr 0
		.amdhsa_user_sgpr_kernarg_segment_ptr 1
		.amdhsa_user_sgpr_dispatch_id 0
		.amdhsa_user_sgpr_flat_scratch_init 0
		.amdhsa_user_sgpr_private_segment_size 0
		.amdhsa_uses_dynamic_stack 0
		.amdhsa_system_sgpr_private_segment_wavefront_offset 0
		.amdhsa_system_sgpr_workgroup_id_x 1
		.amdhsa_system_sgpr_workgroup_id_y 0
		.amdhsa_system_sgpr_workgroup_id_z 0
		.amdhsa_system_sgpr_workgroup_info 0
		.amdhsa_system_vgpr_workitem_id 0
		.amdhsa_next_free_vgpr 75
		.amdhsa_next_free_sgpr 22
		.amdhsa_reserve_vcc 1
		.amdhsa_reserve_flat_scratch 0
		.amdhsa_float_round_mode_32 0
		.amdhsa_float_round_mode_16_64 0
		.amdhsa_float_denorm_mode_32 3
		.amdhsa_float_denorm_mode_16_64 3
		.amdhsa_dx10_clamp 1
		.amdhsa_ieee_mode 1
		.amdhsa_fp16_overflow 0
		.amdhsa_exception_fp_ieee_invalid_op 0
		.amdhsa_exception_fp_denorm_src 0
		.amdhsa_exception_fp_ieee_div_zero 0
		.amdhsa_exception_fp_ieee_overflow 0
		.amdhsa_exception_fp_ieee_underflow 0
		.amdhsa_exception_fp_ieee_inexact 0
		.amdhsa_exception_int_div_zero 0
	.end_amdhsa_kernel
	.text
.Lfunc_end0:
	.size	bluestein_single_fwd_len14_dim1_dp_op_CI_CI, .Lfunc_end0-bluestein_single_fwd_len14_dim1_dp_op_CI_CI
                                        ; -- End function
	.section	.AMDGPU.csdata,"",@progbits
; Kernel info:
; codeLenInByte = 4496
; NumSgprs: 26
; NumVgprs: 75
; ScratchSize: 0
; MemoryBound: 0
; FloatMode: 240
; IeeeMode: 1
; LDSByteSize: 4032 bytes/workgroup (compile time only)
; SGPRBlocks: 3
; VGPRBlocks: 18
; NumSGPRsForWavesPerEU: 26
; NumVGPRsForWavesPerEU: 75
; Occupancy: 3
; WaveLimiterHint : 1
; COMPUTE_PGM_RSRC2:SCRATCH_EN: 0
; COMPUTE_PGM_RSRC2:USER_SGPR: 6
; COMPUTE_PGM_RSRC2:TRAP_HANDLER: 0
; COMPUTE_PGM_RSRC2:TGID_X_EN: 1
; COMPUTE_PGM_RSRC2:TGID_Y_EN: 0
; COMPUTE_PGM_RSRC2:TGID_Z_EN: 0
; COMPUTE_PGM_RSRC2:TIDIG_COMP_CNT: 0
	.type	__hip_cuid_78256a689ce2038,@object ; @__hip_cuid_78256a689ce2038
	.section	.bss,"aw",@nobits
	.globl	__hip_cuid_78256a689ce2038
__hip_cuid_78256a689ce2038:
	.byte	0                               ; 0x0
	.size	__hip_cuid_78256a689ce2038, 1

	.ident	"AMD clang version 19.0.0git (https://github.com/RadeonOpenCompute/llvm-project roc-6.4.0 25133 c7fe45cf4b819c5991fe208aaa96edf142730f1d)"
	.section	".note.GNU-stack","",@progbits
	.addrsig
	.addrsig_sym __hip_cuid_78256a689ce2038
	.amdgpu_metadata
---
amdhsa.kernels:
  - .args:
      - .actual_access:  read_only
        .address_space:  global
        .offset:         0
        .size:           8
        .value_kind:     global_buffer
      - .actual_access:  read_only
        .address_space:  global
        .offset:         8
        .size:           8
        .value_kind:     global_buffer
      - .actual_access:  read_only
        .address_space:  global
        .offset:         16
        .size:           8
        .value_kind:     global_buffer
      - .actual_access:  read_only
        .address_space:  global
        .offset:         24
        .size:           8
        .value_kind:     global_buffer
      - .actual_access:  read_only
        .address_space:  global
        .offset:         32
        .size:           8
        .value_kind:     global_buffer
      - .offset:         40
        .size:           8
        .value_kind:     by_value
      - .address_space:  global
        .offset:         48
        .size:           8
        .value_kind:     global_buffer
      - .address_space:  global
        .offset:         56
        .size:           8
        .value_kind:     global_buffer
      - .address_space:  global
        .offset:         64
        .size:           8
        .value_kind:     global_buffer
      - .address_space:  global
        .offset:         72
        .size:           8
        .value_kind:     global_buffer
      - .offset:         80
        .size:           4
        .value_kind:     by_value
      - .address_space:  global
        .offset:         88
        .size:           8
        .value_kind:     global_buffer
      - .address_space:  global
        .offset:         96
        .size:           8
        .value_kind:     global_buffer
    .group_segment_fixed_size: 4032
    .kernarg_segment_align: 8
    .kernarg_segment_size: 104
    .language:       OpenCL C
    .language_version:
      - 2
      - 0
    .max_flat_workgroup_size: 126
    .name:           bluestein_single_fwd_len14_dim1_dp_op_CI_CI
    .private_segment_fixed_size: 0
    .sgpr_count:     26
    .sgpr_spill_count: 0
    .symbol:         bluestein_single_fwd_len14_dim1_dp_op_CI_CI.kd
    .uniform_work_group_size: 1
    .uses_dynamic_stack: false
    .vgpr_count:     75
    .vgpr_spill_count: 0
    .wavefront_size: 64
amdhsa.target:   amdgcn-amd-amdhsa--gfx906
amdhsa.version:
  - 1
  - 2
...

	.end_amdgpu_metadata
